;; amdgpu-corpus repo=ROCm/rocFFT kind=compiled arch=gfx1030 opt=O3
	.text
	.amdgcn_target "amdgcn-amd-amdhsa--gfx1030"
	.amdhsa_code_object_version 6
	.protected	fft_rtc_back_len1274_factors_2_13_7_7_wgs_182_tpt_182_halfLds_dp_op_CI_CI_unitstride_sbrr_dirReg ; -- Begin function fft_rtc_back_len1274_factors_2_13_7_7_wgs_182_tpt_182_halfLds_dp_op_CI_CI_unitstride_sbrr_dirReg
	.globl	fft_rtc_back_len1274_factors_2_13_7_7_wgs_182_tpt_182_halfLds_dp_op_CI_CI_unitstride_sbrr_dirReg
	.p2align	8
	.type	fft_rtc_back_len1274_factors_2_13_7_7_wgs_182_tpt_182_halfLds_dp_op_CI_CI_unitstride_sbrr_dirReg,@function
fft_rtc_back_len1274_factors_2_13_7_7_wgs_182_tpt_182_halfLds_dp_op_CI_CI_unitstride_sbrr_dirReg: ; @fft_rtc_back_len1274_factors_2_13_7_7_wgs_182_tpt_182_halfLds_dp_op_CI_CI_unitstride_sbrr_dirReg
; %bb.0:
	s_clause 0x2
	s_load_dwordx4 s[12:15], s[4:5], 0x0
	s_load_dwordx4 s[8:11], s[4:5], 0x58
	;; [unrolled: 1-line block ×3, first 2 shown]
	v_mul_u32_u24_e32 v2, 0x169, v0
	v_mov_b32_e32 v1, 0
	v_mov_b32_e32 v4, 0
	;; [unrolled: 1-line block ×3, first 2 shown]
	v_add_nc_u32_sdwa v6, s6, v2 dst_sel:DWORD dst_unused:UNUSED_PAD src0_sel:DWORD src1_sel:WORD_1
	v_mov_b32_e32 v7, v1
	s_waitcnt lgkmcnt(0)
	v_cmp_lt_u64_e64 s0, s[14:15], 2
	s_and_b32 vcc_lo, exec_lo, s0
	s_cbranch_vccnz .LBB0_8
; %bb.1:
	s_load_dwordx2 s[0:1], s[4:5], 0x10
	v_mov_b32_e32 v4, 0
	v_mov_b32_e32 v5, 0
	s_add_u32 s2, s18, 8
	s_addc_u32 s3, s19, 0
	s_add_u32 s6, s16, 8
	s_addc_u32 s7, s17, 0
	v_mov_b32_e32 v55, v5
	v_mov_b32_e32 v54, v4
	s_mov_b64 s[22:23], 1
	s_waitcnt lgkmcnt(0)
	s_add_u32 s20, s0, 8
	s_addc_u32 s21, s1, 0
.LBB0_2:                                ; =>This Inner Loop Header: Depth=1
	s_load_dwordx2 s[24:25], s[20:21], 0x0
                                        ; implicit-def: $vgpr56_vgpr57
	s_mov_b32 s0, exec_lo
	s_waitcnt lgkmcnt(0)
	v_or_b32_e32 v2, s25, v7
	v_cmpx_ne_u64_e32 0, v[1:2]
	s_xor_b32 s1, exec_lo, s0
	s_cbranch_execz .LBB0_4
; %bb.3:                                ;   in Loop: Header=BB0_2 Depth=1
	v_cvt_f32_u32_e32 v2, s24
	v_cvt_f32_u32_e32 v3, s25
	s_sub_u32 s0, 0, s24
	s_subb_u32 s26, 0, s25
	v_fmac_f32_e32 v2, 0x4f800000, v3
	v_rcp_f32_e32 v2, v2
	v_mul_f32_e32 v2, 0x5f7ffffc, v2
	v_mul_f32_e32 v3, 0x2f800000, v2
	v_trunc_f32_e32 v3, v3
	v_fmac_f32_e32 v2, 0xcf800000, v3
	v_cvt_u32_f32_e32 v3, v3
	v_cvt_u32_f32_e32 v2, v2
	v_mul_lo_u32 v8, s0, v3
	v_mul_hi_u32 v9, s0, v2
	v_mul_lo_u32 v10, s26, v2
	v_add_nc_u32_e32 v8, v9, v8
	v_mul_lo_u32 v9, s0, v2
	v_add_nc_u32_e32 v8, v8, v10
	v_mul_hi_u32 v10, v2, v9
	v_mul_lo_u32 v11, v2, v8
	v_mul_hi_u32 v12, v2, v8
	v_mul_hi_u32 v13, v3, v9
	v_mul_lo_u32 v9, v3, v9
	v_mul_hi_u32 v14, v3, v8
	v_mul_lo_u32 v8, v3, v8
	v_add_co_u32 v10, vcc_lo, v10, v11
	v_add_co_ci_u32_e32 v11, vcc_lo, 0, v12, vcc_lo
	v_add_co_u32 v9, vcc_lo, v10, v9
	v_add_co_ci_u32_e32 v9, vcc_lo, v11, v13, vcc_lo
	v_add_co_ci_u32_e32 v10, vcc_lo, 0, v14, vcc_lo
	v_add_co_u32 v8, vcc_lo, v9, v8
	v_add_co_ci_u32_e32 v9, vcc_lo, 0, v10, vcc_lo
	v_add_co_u32 v2, vcc_lo, v2, v8
	v_add_co_ci_u32_e32 v3, vcc_lo, v3, v9, vcc_lo
	v_mul_hi_u32 v8, s0, v2
	v_mul_lo_u32 v10, s26, v2
	v_mul_lo_u32 v9, s0, v3
	v_add_nc_u32_e32 v8, v8, v9
	v_mul_lo_u32 v9, s0, v2
	v_add_nc_u32_e32 v8, v8, v10
	v_mul_hi_u32 v10, v2, v9
	v_mul_lo_u32 v11, v2, v8
	v_mul_hi_u32 v12, v2, v8
	v_mul_hi_u32 v13, v3, v9
	v_mul_lo_u32 v9, v3, v9
	v_mul_hi_u32 v14, v3, v8
	v_mul_lo_u32 v8, v3, v8
	v_add_co_u32 v10, vcc_lo, v10, v11
	v_add_co_ci_u32_e32 v11, vcc_lo, 0, v12, vcc_lo
	v_add_co_u32 v9, vcc_lo, v10, v9
	v_add_co_ci_u32_e32 v9, vcc_lo, v11, v13, vcc_lo
	v_add_co_ci_u32_e32 v10, vcc_lo, 0, v14, vcc_lo
	v_add_co_u32 v8, vcc_lo, v9, v8
	v_add_co_ci_u32_e32 v9, vcc_lo, 0, v10, vcc_lo
	v_add_co_u32 v8, vcc_lo, v2, v8
	v_add_co_ci_u32_e32 v10, vcc_lo, v3, v9, vcc_lo
	v_mul_hi_u32 v12, v6, v8
	v_mad_u64_u32 v[8:9], null, v7, v8, 0
	v_mad_u64_u32 v[2:3], null, v6, v10, 0
	;; [unrolled: 1-line block ×3, first 2 shown]
	v_add_co_u32 v2, vcc_lo, v12, v2
	v_add_co_ci_u32_e32 v3, vcc_lo, 0, v3, vcc_lo
	v_add_co_u32 v2, vcc_lo, v2, v8
	v_add_co_ci_u32_e32 v2, vcc_lo, v3, v9, vcc_lo
	v_add_co_ci_u32_e32 v3, vcc_lo, 0, v11, vcc_lo
	v_add_co_u32 v8, vcc_lo, v2, v10
	v_add_co_ci_u32_e32 v9, vcc_lo, 0, v3, vcc_lo
	v_mul_lo_u32 v10, s25, v8
	v_mad_u64_u32 v[2:3], null, s24, v8, 0
	v_mul_lo_u32 v11, s24, v9
	v_sub_co_u32 v2, vcc_lo, v6, v2
	v_add3_u32 v3, v3, v11, v10
	v_sub_nc_u32_e32 v10, v7, v3
	v_subrev_co_ci_u32_e64 v10, s0, s25, v10, vcc_lo
	v_add_co_u32 v11, s0, v8, 2
	v_add_co_ci_u32_e64 v12, s0, 0, v9, s0
	v_sub_co_u32 v13, s0, v2, s24
	v_sub_co_ci_u32_e32 v3, vcc_lo, v7, v3, vcc_lo
	v_subrev_co_ci_u32_e64 v10, s0, 0, v10, s0
	v_cmp_le_u32_e32 vcc_lo, s24, v13
	v_cmp_eq_u32_e64 s0, s25, v3
	v_cndmask_b32_e64 v13, 0, -1, vcc_lo
	v_cmp_le_u32_e32 vcc_lo, s25, v10
	v_cndmask_b32_e64 v14, 0, -1, vcc_lo
	v_cmp_le_u32_e32 vcc_lo, s24, v2
	;; [unrolled: 2-line block ×3, first 2 shown]
	v_cndmask_b32_e64 v15, 0, -1, vcc_lo
	v_cmp_eq_u32_e32 vcc_lo, s25, v10
	v_cndmask_b32_e64 v2, v15, v2, s0
	v_cndmask_b32_e32 v10, v14, v13, vcc_lo
	v_add_co_u32 v13, vcc_lo, v8, 1
	v_add_co_ci_u32_e32 v14, vcc_lo, 0, v9, vcc_lo
	v_cmp_ne_u32_e32 vcc_lo, 0, v10
	v_cndmask_b32_e32 v3, v14, v12, vcc_lo
	v_cndmask_b32_e32 v10, v13, v11, vcc_lo
	v_cmp_ne_u32_e32 vcc_lo, 0, v2
	v_cndmask_b32_e32 v57, v9, v3, vcc_lo
	v_cndmask_b32_e32 v56, v8, v10, vcc_lo
.LBB0_4:                                ;   in Loop: Header=BB0_2 Depth=1
	s_andn2_saveexec_b32 s0, s1
	s_cbranch_execz .LBB0_6
; %bb.5:                                ;   in Loop: Header=BB0_2 Depth=1
	v_cvt_f32_u32_e32 v2, s24
	s_sub_i32 s1, 0, s24
	v_mov_b32_e32 v57, v1
	v_rcp_iflag_f32_e32 v2, v2
	v_mul_f32_e32 v2, 0x4f7ffffe, v2
	v_cvt_u32_f32_e32 v2, v2
	v_mul_lo_u32 v3, s1, v2
	v_mul_hi_u32 v3, v2, v3
	v_add_nc_u32_e32 v2, v2, v3
	v_mul_hi_u32 v2, v6, v2
	v_mul_lo_u32 v3, v2, s24
	v_add_nc_u32_e32 v8, 1, v2
	v_sub_nc_u32_e32 v3, v6, v3
	v_subrev_nc_u32_e32 v9, s24, v3
	v_cmp_le_u32_e32 vcc_lo, s24, v3
	v_cndmask_b32_e32 v3, v3, v9, vcc_lo
	v_cndmask_b32_e32 v2, v2, v8, vcc_lo
	v_cmp_le_u32_e32 vcc_lo, s24, v3
	v_add_nc_u32_e32 v8, 1, v2
	v_cndmask_b32_e32 v56, v2, v8, vcc_lo
.LBB0_6:                                ;   in Loop: Header=BB0_2 Depth=1
	s_or_b32 exec_lo, exec_lo, s0
	v_mul_lo_u32 v8, v57, s24
	v_mul_lo_u32 v9, v56, s25
	s_load_dwordx2 s[0:1], s[6:7], 0x0
	v_mad_u64_u32 v[2:3], null, v56, s24, 0
	s_load_dwordx2 s[24:25], s[2:3], 0x0
	s_add_u32 s22, s22, 1
	s_addc_u32 s23, s23, 0
	s_add_u32 s2, s2, 8
	s_addc_u32 s3, s3, 0
	s_add_u32 s6, s6, 8
	v_add3_u32 v3, v3, v9, v8
	v_sub_co_u32 v2, vcc_lo, v6, v2
	s_addc_u32 s7, s7, 0
	s_add_u32 s20, s20, 8
	v_sub_co_ci_u32_e32 v3, vcc_lo, v7, v3, vcc_lo
	s_addc_u32 s21, s21, 0
	s_waitcnt lgkmcnt(0)
	v_mul_lo_u32 v6, s0, v3
	v_mul_lo_u32 v7, s1, v2
	v_mad_u64_u32 v[4:5], null, s0, v2, v[4:5]
	v_mul_lo_u32 v3, s24, v3
	v_mul_lo_u32 v8, s25, v2
	v_mad_u64_u32 v[54:55], null, s24, v2, v[54:55]
	v_cmp_ge_u64_e64 s0, s[22:23], s[14:15]
	v_add3_u32 v5, v7, v5, v6
	v_add3_u32 v55, v8, v55, v3
	s_and_b32 vcc_lo, exec_lo, s0
	s_cbranch_vccnz .LBB0_9
; %bb.7:                                ;   in Loop: Header=BB0_2 Depth=1
	v_mov_b32_e32 v6, v56
	v_mov_b32_e32 v7, v57
	s_branch .LBB0_2
.LBB0_8:
	v_mov_b32_e32 v55, v5
	v_mov_b32_e32 v57, v7
	;; [unrolled: 1-line block ×4, first 2 shown]
.LBB0_9:
	s_load_dwordx2 s[0:1], s[4:5], 0x28
	v_mul_hi_u32 v1, 0x1681682, v0
	s_lshl_b64 s[4:5], s[14:15], 3
                                        ; implicit-def: $sgpr6
                                        ; implicit-def: $vgpr73
	s_add_u32 s2, s18, s4
	s_addc_u32 s3, s19, s5
	s_waitcnt lgkmcnt(0)
	v_cmp_gt_u64_e32 vcc_lo, s[0:1], v[56:57]
	v_cmp_le_u64_e64 s0, s[0:1], v[56:57]
	s_and_saveexec_b32 s1, s0
	s_xor_b32 s0, exec_lo, s1
; %bb.10:
	v_mul_u32_u24_e32 v1, 0xb6, v1
	s_mov_b32 s6, 0
                                        ; implicit-def: $vgpr4_vgpr5
	v_sub_nc_u32_e32 v73, v0, v1
                                        ; implicit-def: $vgpr1
                                        ; implicit-def: $vgpr0
; %bb.11:
	s_or_saveexec_b32 s1, s0
	s_load_dwordx2 s[2:3], s[2:3], 0x0
	v_mov_b32_e32 v58, s6
                                        ; implicit-def: $vgpr52_vgpr53
                                        ; implicit-def: $vgpr48_vgpr49
                                        ; implicit-def: $vgpr40_vgpr41
                                        ; implicit-def: $vgpr32_vgpr33
                                        ; implicit-def: $vgpr44_vgpr45
                                        ; implicit-def: $vgpr28_vgpr29
                                        ; implicit-def: $vgpr2_vgpr3
                                        ; implicit-def: $vgpr36_vgpr37
	s_xor_b32 exec_lo, exec_lo, s1
	s_cbranch_execz .LBB0_15
; %bb.12:
	s_add_u32 s4, s16, s4
	s_addc_u32 s5, s17, s5
                                        ; implicit-def: $vgpr46_vgpr47
                                        ; implicit-def: $vgpr50_vgpr51
	s_load_dwordx2 s[4:5], s[4:5], 0x0
	s_waitcnt lgkmcnt(0)
	v_mul_lo_u32 v6, s5, v56
	v_mul_lo_u32 v7, s4, v57
	v_mad_u64_u32 v[2:3], null, s4, v56, 0
	s_mov_b32 s4, exec_lo
	v_add3_u32 v3, v3, v7, v6
	v_mul_u32_u24_e32 v6, 0xb6, v1
	v_lshlrev_b64 v[1:2], 4, v[2:3]
	v_lshlrev_b64 v[3:4], 4, v[4:5]
	v_sub_nc_u32_e32 v73, v0, v6
	v_add_co_u32 v0, s0, s8, v1
	v_add_co_ci_u32_e64 v1, s0, s9, v2, s0
	v_lshlrev_b32_e32 v2, 4, v73
	v_add_co_u32 v0, s0, v0, v3
	v_add_co_ci_u32_e64 v1, s0, v1, v4, s0
	v_add_co_u32 v4, s0, v0, v2
	v_add_co_ci_u32_e64 v5, s0, 0, v1, s0
	v_add_co_u32 v6, s0, 0x2000, v4
	v_add_co_ci_u32_e64 v7, s0, 0, v5, s0
	v_add_co_u32 v8, s0, 0x800, v4
	v_add_co_ci_u32_e64 v9, s0, 0, v5, s0
	v_add_co_u32 v10, s0, 0x3000, v4
	v_add_co_ci_u32_e64 v11, s0, 0, v5, s0
	v_add_co_u32 v12, s0, 0x1000, v4
	v_add_co_ci_u32_e64 v13, s0, 0, v5, s0
	v_add_co_u32 v14, s0, 0x3800, v4
	v_add_co_ci_u32_e64 v15, s0, 0, v5, s0
	s_clause 0x5
	global_load_dwordx4 v[34:37], v[4:5], off
	global_load_dwordx4 v[0:3], v[6:7], off offset:2000
	global_load_dwordx4 v[26:29], v[8:9], off offset:864
	global_load_dwordx4 v[42:45], v[10:11], off offset:816
	global_load_dwordx4 v[30:33], v[12:13], off offset:1728
	global_load_dwordx4 v[38:41], v[14:15], off offset:1680
	v_cmpx_gt_u32_e32 0x5b, v73
; %bb.13:
	v_add_co_u32 v4, s0, 0x4800, v4
	v_add_co_ci_u32_e64 v5, s0, 0, v5, s0
	s_clause 0x1
	global_load_dwordx4 v[46:49], v[6:7], off offset:544
	global_load_dwordx4 v[50:53], v[4:5], off offset:496
; %bb.14:
	s_or_b32 exec_lo, exec_lo, s4
	v_mov_b32_e32 v58, v73
.LBB0_15:
	s_or_b32 exec_lo, exec_lo, s1
	s_waitcnt vmcnt(4)
	v_add_f64 v[6:7], v[34:35], -v[0:1]
	s_waitcnt vmcnt(2)
	v_add_f64 v[10:11], v[26:27], -v[42:43]
	;; [unrolled: 2-line block ×3, first 2 shown]
	v_add_f64 v[18:19], v[46:47], -v[50:51]
	v_add_nc_u32_e32 v0, 0x222, v73
	v_lshl_add_u32 v50, v73, 4, 0
	v_cmp_gt_u32_e64 s1, 0x5b, v73
	v_lshl_add_u32 v42, v0, 4, 0
	v_fma_f64 v[4:5], v[34:35], 2.0, -v[6:7]
	v_fma_f64 v[8:9], v[26:27], 2.0, -v[10:11]
	;; [unrolled: 1-line block ×4, first 2 shown]
	ds_write_b128 v50, v[4:7]
	ds_write_b128 v50, v[8:11] offset:2912
	ds_write_b128 v50, v[12:15] offset:5824
	s_and_saveexec_b32 s0, s1
	s_cbranch_execz .LBB0_17
; %bb.16:
	ds_write_b128 v42, v[16:19]
.LBB0_17:
	s_or_b32 exec_lo, exec_lo, s0
	v_add_nc_u32_e32 v46, 0xb60, v50
	v_add_nc_u32_e32 v43, 0x16c0, v50
	v_cmp_gt_u32_e64 s0, 0x62, v73
	v_lshlrev_b32_e32 v51, 3, v73
	s_waitcnt lgkmcnt(0)
	s_barrier
	buffer_gl0_inv
                                        ; implicit-def: $vgpr69_vgpr70
                                        ; implicit-def: $vgpr22_vgpr23
                                        ; implicit-def: $vgpr26_vgpr27
	s_and_saveexec_b32 s4, s0
	s_cbranch_execz .LBB0_19
; %bb.18:
	v_sub_nc_u32_e32 v0, v50, v51
	v_add_nc_u32_e32 v1, 0x400, v0
	v_add_nc_u32_e32 v12, 0x800, v0
	;; [unrolled: 1-line block ×5, first 2 shown]
	ds_read2_b64 v[4:7], v0 offset1:98
	ds_read2_b64 v[8:11], v1 offset0:68 offset1:166
	ds_read2_b64 v[12:15], v12 offset0:136 offset1:234
	ds_read2_b64 v[16:19], v16 offset0:76 offset1:174
	ds_read2_b64 v[24:27], v20 offset0:16 offset1:114
	ds_read2_b64 v[20:23], v21 offset0:84 offset1:182
	ds_read_b64 v[69:70], v0 offset:9408
.LBB0_19:
	s_or_b32 exec_lo, exec_lo, s4
	v_add_f64 v[2:3], v[36:37], -v[2:3]
	v_add_f64 v[30:31], v[28:29], -v[44:45]
	;; [unrolled: 1-line block ×4, first 2 shown]
	s_waitcnt lgkmcnt(0)
	s_barrier
	buffer_gl0_inv
	v_fma_f64 v[0:1], v[36:37], 2.0, -v[2:3]
	v_fma_f64 v[28:29], v[28:29], 2.0, -v[30:31]
	;; [unrolled: 1-line block ×4, first 2 shown]
	ds_write_b128 v50, v[0:3]
	ds_write_b128 v46, v[28:31]
	;; [unrolled: 1-line block ×3, first 2 shown]
	s_and_saveexec_b32 s4, s1
	s_cbranch_execz .LBB0_21
; %bb.20:
	ds_write_b128 v42, v[36:39]
.LBB0_21:
	s_or_b32 exec_lo, exec_lo, s4
	s_waitcnt lgkmcnt(0)
	s_barrier
	buffer_gl0_inv
                                        ; implicit-def: $vgpr71_vgpr72
                                        ; implicit-def: $vgpr42_vgpr43
                                        ; implicit-def: $vgpr46_vgpr47
	s_and_saveexec_b32 s1, s0
	s_cbranch_execz .LBB0_23
; %bb.22:
	v_sub_nc_u32_e32 v48, v50, v51
	v_add_nc_u32_e32 v28, 0x400, v48
	v_add_nc_u32_e32 v32, 0x800, v48
	;; [unrolled: 1-line block ×5, first 2 shown]
	ds_read2_b64 v[0:3], v48 offset1:98
	ds_read2_b64 v[28:31], v28 offset0:68 offset1:166
	ds_read2_b64 v[32:35], v32 offset0:136 offset1:234
	;; [unrolled: 1-line block ×5, first 2 shown]
	ds_read_b64 v[71:72], v48 offset:9408
.LBB0_23:
	s_or_b32 exec_lo, exec_lo, s1
	v_and_b32_e32 v74, 1, v73
	v_mul_u32_u24_e32 v48, 12, v74
	v_lshlrev_b32_e32 v52, 4, v48
	s_clause 0xb
	global_load_dwordx4 v[48:51], v52, s[12:13] offset:16
	global_load_dwordx4 v[59:62], v52, s[12:13] offset:32
	global_load_dwordx4 v[75:78], v52, s[12:13] offset:48
	global_load_dwordx4 v[79:82], v52, s[12:13] offset:64
	global_load_dwordx4 v[83:86], v52, s[12:13] offset:80
	global_load_dwordx4 v[87:90], v52, s[12:13] offset:96
	global_load_dwordx4 v[91:94], v52, s[12:13] offset:112
	global_load_dwordx4 v[95:98], v52, s[12:13] offset:128
	global_load_dwordx4 v[99:102], v52, s[12:13] offset:144
	global_load_dwordx4 v[103:106], v52, s[12:13] offset:160
	global_load_dwordx4 v[107:110], v52, s[12:13] offset:176
	global_load_dwordx4 v[111:114], v52, s[12:13]
	s_waitcnt vmcnt(0) lgkmcnt(0)
	s_barrier
	buffer_gl0_inv
	v_mul_f64 v[52:53], v[28:29], v[50:51]
	v_mul_f64 v[50:51], v[8:9], v[50:51]
	;; [unrolled: 1-line block ×24, first 2 shown]
	v_fma_f64 v[65:66], v[8:9], v[48:49], v[52:53]
	v_fma_f64 v[67:68], v[28:29], v[48:49], -v[50:51]
	v_fma_f64 v[63:64], v[10:11], v[59:60], v[63:64]
	v_fma_f64 v[50:51], v[30:31], v[59:60], -v[61:62]
	;; [unrolled: 2-line block ×12, first 2 shown]
	v_lshrrev_b32_e32 v69, 1, v73
	s_and_saveexec_b32 s1, s0
	s_cbranch_execz .LBB0_25
; %bb.24:
	v_add_f64 v[10:11], v[4:5], v[42:43]
	v_add_f64 v[2:3], v[44:45], -v[14:15]
	s_mov_b32 s4, 0x66966769
	s_mov_b32 s22, 0x42a4c3d2
	;; [unrolled: 1-line block ×8, first 2 shown]
	v_add_f64 v[6:7], v[67:68], -v[16:17]
	v_add_f64 v[8:9], v[42:43], v[40:41]
	s_mov_b32 s6, 0xebaa3ed8
	s_mov_b32 s20, 0x4bc48dbf
	;; [unrolled: 1-line block ×9, first 2 shown]
	v_add_f64 v[75:76], v[50:51], -v[18:19]
	v_add_f64 v[10:11], v[10:11], v[65:66]
	v_mul_f64 v[46:47], v[2:3], s[8:9]
	v_mul_f64 v[70:71], v[2:3], s[34:35]
	v_add_f64 v[79:80], v[48:49], -v[24:25]
	s_mov_b32 s31, 0xbfe5384d
	v_add_f64 v[97:98], v[32:33], -v[30:31]
	v_add_f64 v[99:100], v[34:35], -v[28:29]
	v_add_f64 v[12:13], v[65:66], v[22:23]
	v_mul_f64 v[85:86], v[2:3], s[20:21]
	v_mul_f64 v[87:88], v[2:3], s[30:31]
	;; [unrolled: 1-line block ×5, first 2 shown]
	s_mov_b32 s39, 0x3fddbe06
	s_mov_b32 s38, 0x4267c47c
	;; [unrolled: 1-line block ×9, first 2 shown]
	v_add_f64 v[10:11], v[10:11], v[63:64]
	v_fma_f64 v[91:92], v[8:9], s[6:7], v[46:47]
	v_fma_f64 v[93:94], v[8:9], s[16:17], v[70:71]
	s_mov_b32 s40, s30
	v_mul_f64 v[105:106], v[79:80], s[38:39]
	v_mul_f64 v[107:108], v[6:7], s[38:39]
	;; [unrolled: 1-line block ×5, first 2 shown]
	s_mov_b32 s39, 0xbfddbe06
	v_mul_f64 v[109:110], v[6:7], s[4:5]
	v_fma_f64 v[111:112], v[12:13], s[14:15], v[81:82]
	v_fma_f64 v[113:114], v[12:13], s[18:19], v[83:84]
	v_fma_f64 v[115:116], v[8:9], s[14:15], -v[85:86]
	v_fma_f64 v[85:86], v[8:9], s[14:15], v[85:86]
	v_fma_f64 v[117:118], v[8:9], s[28:29], -v[87:88]
	;; [unrolled: 2-line block ×3, first 2 shown]
	v_mul_f64 v[121:122], v[6:7], s[40:41]
	v_fma_f64 v[95:96], v[8:9], s[18:19], v[95:96]
	v_fma_f64 v[46:47], v[8:9], s[6:7], -v[46:47]
	v_mul_f64 v[2:3], v[2:3], s[38:39]
	v_add_f64 v[10:11], v[10:11], v[61:62]
	v_add_f64 v[91:92], v[4:5], v[91:92]
	;; [unrolled: 1-line block ×3, first 2 shown]
	s_mov_b32 s37, 0x3fedeba7
	s_mov_b32 s36, s26
	v_add_f64 v[77:78], v[63:64], v[20:21]
	v_mul_f64 v[101:102], v[75:76], s[36:37]
	v_mul_f64 v[103:104], v[75:76], s[20:21]
	v_fma_f64 v[70:71], v[8:9], s[16:17], -v[70:71]
	s_mov_b32 s24, 0xe00740e9
	s_mov_b32 s25, 0x3fec55a7
	v_fma_f64 v[135:136], v[12:13], s[6:7], -v[109:110]
	v_fma_f64 v[133:134], v[12:13], s[24:25], -v[107:108]
	v_fma_f64 v[107:108], v[12:13], s[24:25], v[107:108]
	v_fma_f64 v[109:110], v[12:13], s[6:7], v[109:110]
	v_add_f64 v[115:116], v[4:5], v[115:116]
	v_add_f64 v[85:86], v[4:5], v[85:86]
	v_add_f64 v[117:118], v[4:5], v[117:118]
	v_add_f64 v[87:88], v[4:5], v[87:88]
	v_add_f64 v[95:96], v[4:5], v[95:96]
	v_fma_f64 v[81:82], v[12:13], s[14:15], -v[81:82]
	v_add_f64 v[46:47], v[4:5], v[46:47]
	v_add_f64 v[10:11], v[10:11], v[59:60]
	;; [unrolled: 1-line block ×5, first 2 shown]
	v_fma_f64 v[113:114], v[12:13], s[28:29], -v[121:122]
	v_fma_f64 v[119:120], v[12:13], s[28:29], v[121:122]
	v_mul_f64 v[121:122], v[75:76], s[30:31]
	v_mul_f64 v[137:138], v[75:76], s[34:35]
	;; [unrolled: 1-line block ×3, first 2 shown]
	v_fma_f64 v[143:144], v[8:9], s[24:25], v[2:3]
	v_fma_f64 v[2:3], v[8:9], s[24:25], -v[2:3]
	v_add_f64 v[89:90], v[61:62], v[26:27]
	v_fma_f64 v[129:130], v[77:78], s[18:19], v[101:102]
	v_fma_f64 v[131:132], v[77:78], s[14:15], v[103:104]
	v_fma_f64 v[83:84], v[12:13], s[18:19], -v[83:84]
	v_add_f64 v[70:71], v[4:5], v[70:71]
	v_add_f64 v[115:116], v[133:134], v[115:116]
	;; [unrolled: 1-line block ×5, first 2 shown]
	v_fma_f64 v[117:118], v[77:78], s[24:25], -v[125:126]
	v_add_f64 v[46:47], v[81:82], v[46:47]
	v_add_f64 v[10:11], v[10:11], v[52:53]
	v_fma_f64 v[101:102], v[77:78], s[18:19], -v[101:102]
	v_mul_f64 v[75:76], v[75:76], s[8:9]
	s_mov_b32 s37, 0x3fcea1e5
	v_add_f64 v[109:110], v[113:114], v[111:112]
	v_add_f64 v[95:96], v[119:120], v[95:96]
	v_fma_f64 v[81:82], v[77:78], s[28:29], -v[121:122]
	v_fma_f64 v[8:9], v[77:78], s[28:29], v[121:122]
	v_fma_f64 v[111:112], v[77:78], s[16:17], -v[137:138]
	v_fma_f64 v[113:114], v[77:78], s[16:17], v[137:138]
	v_fma_f64 v[119:120], v[77:78], s[24:25], v[125:126]
	v_mul_f64 v[121:122], v[79:80], s[22:23]
	v_fma_f64 v[135:136], v[12:13], s[16:17], v[6:7]
	v_add_f64 v[137:138], v[4:5], v[143:144]
	v_fma_f64 v[6:7], v[12:13], s[16:17], -v[6:7]
	v_add_f64 v[2:3], v[4:5], v[2:3]
	s_mov_b32 s36, s20
	v_mul_f64 v[139:140], v[79:80], s[40:41]
	v_fma_f64 v[141:142], v[89:90], s[24:25], v[105:106]
	v_add_f64 v[91:92], v[129:130], v[91:92]
	v_add_f64 v[93:94], v[131:132], v[93:94]
	v_mul_f64 v[129:130], v[79:80], s[36:37]
	v_add_f64 v[10:11], v[10:11], v[36:37]
	v_add_f64 v[131:132], v[59:60], v[38:39]
	v_mul_f64 v[133:134], v[79:80], s[8:9]
	v_add_f64 v[70:71], v[83:84], v[70:71]
	v_fma_f64 v[83:84], v[77:78], s[14:15], -v[103:104]
	v_mul_f64 v[103:104], v[99:100], s[34:35]
	v_add_f64 v[12:13], v[81:82], v[115:116]
	v_add_f64 v[8:9], v[8:9], v[85:86]
	;; [unrolled: 1-line block ×7, first 2 shown]
	v_fma_f64 v[101:102], v[89:90], s[16:17], -v[121:122]
	v_fma_f64 v[107:108], v[89:90], s[16:17], v[121:122]
	v_fma_f64 v[117:118], v[77:78], s[6:7], v[75:76]
	v_add_f64 v[119:120], v[135:136], v[137:138]
	v_mul_f64 v[79:80], v[79:80], s[26:27]
	v_fma_f64 v[75:76], v[77:78], s[6:7], -v[75:76]
	v_add_f64 v[2:3], v[6:7], v[2:3]
	v_fma_f64 v[125:126], v[89:90], s[28:29], v[139:140]
	v_mul_f64 v[4:5], v[99:100], s[4:5]
	v_add_f64 v[10:11], v[10:11], v[38:39]
	v_fma_f64 v[109:110], v[89:90], s[14:15], -v[129:130]
	v_fma_f64 v[111:112], v[89:90], s[14:15], v[129:130]
	v_fma_f64 v[113:114], v[89:90], s[6:7], -v[133:134]
	v_fma_f64 v[115:116], v[89:90], s[6:7], v[133:134]
	v_add_f64 v[70:71], v[83:84], v[70:71]
	v_fma_f64 v[83:84], v[89:90], s[24:25], -v[105:106]
	v_fma_f64 v[6:7], v[89:90], s[28:29], -v[139:140]
	v_mul_f64 v[77:78], v[99:100], s[26:27]
	v_add_f64 v[91:92], v[141:142], v[91:92]
	v_fma_f64 v[105:106], v[131:132], s[16:17], v[103:104]
	v_mul_f64 v[121:122], v[99:100], s[36:37]
	v_mul_f64 v[99:100], v[99:100], s[30:31]
	v_add_f64 v[12:13], v[101:102], v[12:13]
	v_add_f64 v[8:9], v[107:108], v[8:9]
	;; [unrolled: 1-line block ×4, first 2 shown]
	v_fma_f64 v[107:108], v[89:90], s[18:19], v[79:80]
	v_fma_f64 v[79:80], v[89:90], s[18:19], -v[79:80]
	v_add_f64 v[2:3], v[75:76], v[2:3]
	v_add_f64 v[93:94], v[125:126], v[93:94]
	v_fma_f64 v[125:126], v[131:132], s[6:7], v[4:5]
	v_add_f64 v[10:11], v[10:11], v[26:27]
	v_mul_f64 v[133:134], v[97:98], s[30:31]
	v_add_f64 v[81:82], v[109:110], v[81:82]
	v_add_f64 v[85:86], v[111:112], v[85:86]
	;; [unrolled: 1-line block ×6, first 2 shown]
	v_fma_f64 v[70:71], v[131:132], s[18:19], -v[77:78]
	v_fma_f64 v[75:76], v[131:132], s[18:19], v[77:78]
	v_fma_f64 v[77:78], v[131:132], s[24:25], -v[127:128]
	v_fma_f64 v[83:84], v[131:132], s[24:25], v[127:128]
	;; [unrolled: 2-line block ×3, first 2 shown]
	v_fma_f64 v[4:5], v[131:132], s[6:7], -v[4:5]
	v_mul_f64 v[111:112], v[97:98], s[4:5]
	v_mul_f64 v[113:114], v[97:98], s[26:27]
	v_add_f64 v[91:92], v[105:106], v[91:92]
	v_mul_f64 v[105:106], v[97:98], s[22:23]
	v_fma_f64 v[103:104], v[131:132], s[16:17], -v[103:104]
	v_add_f64 v[101:102], v[107:108], v[101:102]
	v_fma_f64 v[107:108], v[131:132], s[28:29], v[99:100]
	v_mul_f64 v[97:98], v[97:98], s[20:21]
	v_add_f64 v[10:11], v[10:11], v[20:21]
	v_fma_f64 v[99:100], v[131:132], s[28:29], -v[99:100]
	v_add_f64 v[2:3], v[79:80], v[2:3]
	v_add_f64 v[93:94], v[125:126], v[93:94]
	v_fma_f64 v[115:116], v[129:130], s[28:29], v[133:134]
	v_fma_f64 v[79:80], v[129:130], s[24:25], v[123:124]
	v_mul_u32_u24_e32 v72, 26, v69
	v_add_f64 v[12:13], v[70:71], v[12:13]
	v_add_f64 v[8:9], v[75:76], v[8:9]
	;; [unrolled: 1-line block ×7, first 2 shown]
	v_fma_f64 v[6:7], v[129:130], s[6:7], -v[111:112]
	v_fma_f64 v[85:86], v[129:130], s[18:19], -v[113:114]
	v_fma_f64 v[87:88], v[129:130], s[18:19], v[113:114]
	v_fma_f64 v[89:90], v[129:130], s[16:17], -v[105:106]
	v_fma_f64 v[95:96], v[129:130], s[16:17], v[105:106]
	v_fma_f64 v[83:84], v[129:130], s[6:7], v[111:112]
	v_add_f64 v[46:47], v[103:104], v[46:47]
	v_fma_f64 v[103:104], v[129:130], s[28:29], -v[133:134]
	v_fma_f64 v[105:106], v[129:130], s[24:25], -v[123:124]
	v_add_f64 v[101:102], v[107:108], v[101:102]
	v_fma_f64 v[107:108], v[129:130], s[14:15], v[97:98]
	v_add_f64 v[10:11], v[10:11], v[22:23]
	v_fma_f64 v[97:98], v[129:130], s[14:15], -v[97:98]
	v_add_f64 v[2:3], v[99:100], v[2:3]
	v_add_f64 v[91:92], v[115:116], v[91:92]
	;; [unrolled: 1-line block ×3, first 2 shown]
	v_or_b32_e32 v72, v72, v74
	v_lshl_add_u32 v72, v72, 3, 0
	v_add_f64 v[6:7], v[6:7], v[12:13]
	v_add_f64 v[12:13], v[85:86], v[70:71]
	;; [unrolled: 1-line block ×11, first 2 shown]
	ds_write2_b64 v72, v[79:80], v[91:92] offset0:4 offset1:6
	ds_write2_b64 v72, v[77:78], v[70:71] offset0:8 offset1:10
	;; [unrolled: 1-line block ×5, first 2 shown]
	ds_write2_b64 v72, v[10:11], v[81:82] offset1:2
	ds_write_b64 v72, v[2:3] offset:192
.LBB0_25:
	s_or_b32 exec_lo, exec_lo, s1
	v_lshl_add_u32 v70, v73, 3, 0
	s_waitcnt lgkmcnt(0)
	s_barrier
	buffer_gl0_inv
	v_add_nc_u32_e32 v71, 0xa00, v70
	v_add_nc_u32_e32 v72, 0x1600, v70
	ds_read2_b64 v[2:5], v70 offset1:182
	ds_read2_b64 v[10:13], v71 offset0:44 offset1:226
	ds_read2_b64 v[6:9], v72 offset0:24 offset1:206
	ds_read_b64 v[46:47], v70 offset:8736
	s_waitcnt lgkmcnt(0)
	s_barrier
	buffer_gl0_inv
	s_and_saveexec_b32 s33, s0
	s_cbranch_execz .LBB0_27
; %bb.26:
	v_add_f64 v[75:76], v[0:1], v[44:45]
	v_add_f64 v[40:41], v[42:43], -v[40:41]
	v_add_f64 v[44:45], v[44:45], v[14:15]
	s_mov_b32 s38, 0xe00740e9
	s_mov_b32 s36, 0x1ea71119
	;; [unrolled: 1-line block ×12, first 2 shown]
	v_add_f64 v[22:23], v[65:66], -v[22:23]
	v_add_f64 v[65:66], v[50:51], v[18:19]
	v_add_f64 v[36:37], v[52:53], -v[36:37]
	v_add_f64 v[26:27], v[61:62], -v[26:27]
	v_add_f64 v[61:62], v[34:35], v[28:29]
	s_mov_b32 s0, 0x4267c47c
	s_mov_b32 s6, 0x42a4c3d2
	v_add_f64 v[42:43], v[75:76], v[67:68]
	v_add_f64 v[67:68], v[67:68], v[16:17]
	v_mul_f64 v[52:53], v[44:45], s[36:37]
	v_mul_f64 v[75:76], v[44:45], s[18:19]
	;; [unrolled: 1-line block ×4, first 2 shown]
	s_mov_b32 s8, 0x66966769
	s_mov_b32 s1, 0x3fddbe06
	;; [unrolled: 1-line block ×16, first 2 shown]
	v_add_f64 v[42:43], v[42:43], v[50:51]
	v_mul_f64 v[50:51], v[44:45], s[38:39]
	v_mul_f64 v[44:45], v[44:45], s[42:43]
	s_mov_b32 s20, s22
	s_mov_b32 s25, 0xbfe5384d
	;; [unrolled: 1-line block ×6, first 2 shown]
	v_mul_f64 v[81:82], v[67:68], s[36:37]
	v_mul_f64 v[83:84], v[67:68], s[34:35]
	;; [unrolled: 1-line block ×3, first 2 shown]
	v_fma_f64 v[131:132], v[40:41], s[8:9], v[75:76]
	v_mul_f64 v[87:88], v[67:68], s[40:41]
	v_mul_f64 v[89:90], v[67:68], s[18:19]
	v_fma_f64 v[75:76], v[40:41], s[16:17], v[75:76]
	v_fma_f64 v[133:134], v[40:41], s[22:23], v[77:78]
	;; [unrolled: 1-line block ×4, first 2 shown]
	v_add_f64 v[38:39], v[59:60], -v[38:39]
	v_add_f64 v[59:60], v[32:33], v[30:31]
	v_mul_f64 v[67:68], v[67:68], s[38:39]
	v_add_f64 v[42:43], v[42:43], v[48:49]
	v_fma_f64 v[129:130], v[40:41], s[0:1], v[50:51]
	v_fma_f64 v[79:80], v[40:41], s[24:25], v[79:80]
	v_fma_f64 v[137:138], v[40:41], s[30:31], v[44:45]
	v_add_f64 v[20:21], v[63:64], -v[20:21]
	v_add_f64 v[63:64], v[48:49], v[24:25]
	v_mul_f64 v[91:92], v[65:66], s[18:19]
	v_mul_f64 v[93:94], v[65:66], s[42:43]
	;; [unrolled: 1-line block ×4, first 2 shown]
	v_fma_f64 v[139:140], v[22:23], s[22:23], v[83:84]
	v_fma_f64 v[83:84], v[22:23], s[20:21], v[83:84]
	;; [unrolled: 1-line block ×3, first 2 shown]
	v_add_f64 v[131:132], v[0:1], v[131:132]
	v_mul_f64 v[97:98], v[65:66], s[36:37]
	v_fma_f64 v[85:86], v[22:23], s[28:29], v[85:86]
	v_fma_f64 v[143:144], v[22:23], s[24:25], v[87:88]
	;; [unrolled: 1-line block ×4, first 2 shown]
	v_add_f64 v[75:76], v[0:1], v[75:76]
	v_add_f64 v[133:134], v[0:1], v[133:134]
	;; [unrolled: 1-line block ×4, first 2 shown]
	v_fma_f64 v[42:43], v[40:41], s[4:5], v[50:51]
	v_fma_f64 v[50:51], v[40:41], s[6:7], v[52:53]
	;; [unrolled: 1-line block ×5, first 2 shown]
	v_add_f64 v[129:130], v[0:1], v[129:130]
	v_add_f64 v[135:136], v[0:1], v[135:136]
	v_mul_f64 v[65:66], v[65:66], s[40:41]
	v_fma_f64 v[81:82], v[22:23], s[14:15], v[81:82]
	v_fma_f64 v[89:90], v[22:23], s[8:9], v[89:90]
	v_add_f64 v[137:138], v[0:1], v[137:138]
	v_add_f64 v[79:80], v[0:1], v[79:80]
	v_mul_f64 v[99:100], v[63:64], s[34:35]
	v_mul_f64 v[101:102], v[63:64], s[40:41]
	;; [unrolled: 1-line block ×3, first 2 shown]
	v_fma_f64 v[147:148], v[20:21], s[30:31], v[93:94]
	v_fma_f64 v[149:150], v[20:21], s[20:21], v[95:96]
	v_mul_f64 v[105:106], v[63:64], s[18:19]
	v_mul_f64 v[107:108], v[63:64], s[42:43]
	v_fma_f64 v[151:152], v[20:21], s[4:5], v[48:49]
	v_add_f64 v[75:76], v[85:86], v[75:76]
	v_add_f64 v[32:33], v[34:35], v[32:33]
	v_fma_f64 v[34:35], v[22:23], s[4:5], v[67:68]
	v_add_f64 v[50:51], v[0:1], v[50:51]
	v_add_f64 v[52:53], v[0:1], v[52:53]
	;; [unrolled: 3-line block ×4, first 2 shown]
	v_add_f64 v[77:78], v[87:88], v[77:78]
	v_add_f64 v[87:88], v[145:146], v[135:136]
	v_mul_f64 v[63:64], v[63:64], s[36:37]
	v_fma_f64 v[91:92], v[20:21], s[16:17], v[91:92]
	v_fma_f64 v[93:94], v[20:21], s[28:29], v[93:94]
	;; [unrolled: 1-line block ×5, first 2 shown]
	v_add_f64 v[79:80], v[89:90], v[79:80]
	v_mul_f64 v[109:110], v[61:62], s[40:41]
	v_mul_f64 v[111:112], v[61:62], s[18:19]
	;; [unrolled: 1-line block ×3, first 2 shown]
	v_add_f64 v[30:31], v[32:33], v[30:31]
	v_fma_f64 v[32:33], v[20:21], s[6:7], v[97:98]
	v_add_f64 v[50:51], v[139:140], v[50:51]
	v_add_f64 v[52:53], v[83:84], v[52:53]
	v_add_f64 v[83:84], v[141:142], v[131:132]
	v_fma_f64 v[97:98], v[20:21], s[14:15], v[97:98]
	v_fma_f64 v[20:21], v[20:21], s[24:25], v[65:66]
	v_add_f64 v[34:35], v[34:35], v[137:138]
	v_add_f64 v[22:23], v[22:23], v[40:41]
	;; [unrolled: 1-line block ×3, first 2 shown]
	v_fma_f64 v[65:66], v[26:27], s[22:23], v[99:100]
	v_fma_f64 v[42:43], v[26:27], s[20:21], v[99:100]
	;; [unrolled: 1-line block ×4, first 2 shown]
	v_add_f64 v[44:45], v[67:68], v[44:45]
	v_mul_f64 v[115:116], v[61:62], s[42:43]
	v_mul_f64 v[117:118], v[61:62], s[38:39]
	v_fma_f64 v[40:41], v[26:27], s[8:9], v[105:106]
	v_mul_f64 v[61:62], v[61:62], s[34:35]
	v_fma_f64 v[101:102], v[26:27], s[26:27], v[101:102]
	v_fma_f64 v[89:90], v[26:27], s[16:17], v[105:106]
	;; [unrolled: 1-line block ×3, first 2 shown]
	v_add_f64 v[28:29], v[30:31], v[28:29]
	v_fma_f64 v[30:31], v[26:27], s[0:1], v[103:104]
	v_add_f64 v[50:51], v[147:148], v[50:51]
	v_fma_f64 v[103:104], v[26:27], s[28:29], v[107:108]
	v_add_f64 v[67:68], v[149:150], v[83:84]
	v_add_f64 v[83:84], v[151:152], v[85:86]
	;; [unrolled: 1-line block ×3, first 2 shown]
	v_fma_f64 v[81:82], v[26:27], s[14:15], v[63:64]
	v_fma_f64 v[26:27], v[26:27], s[6:7], v[63:64]
	v_add_f64 v[34:35], v[153:154], v[34:35]
	v_add_f64 v[20:21], v[20:21], v[22:23]
	;; [unrolled: 1-line block ×7, first 2 shown]
	v_mul_f64 v[119:120], v[59:60], s[42:43]
	v_mul_f64 v[121:122], v[59:60], s[38:39]
	;; [unrolled: 1-line block ×3, first 2 shown]
	v_fma_f64 v[63:64], v[38:39], s[26:27], v[109:110]
	v_fma_f64 v[107:108], v[38:39], s[16:17], v[111:112]
	v_add_f64 v[44:45], v[65:66], v[44:45]
	v_add_f64 v[22:23], v[28:29], v[24:25]
	v_fma_f64 v[28:29], v[38:39], s[6:7], v[113:114]
	v_add_f64 v[50:51], v[99:100], v[50:51]
	v_mul_f64 v[125:126], v[59:60], s[36:37]
	v_add_f64 v[65:66], v[155:156], v[67:68]
	v_mul_f64 v[127:128], v[59:60], s[34:35]
	v_fma_f64 v[85:86], v[38:39], s[28:29], v[115:116]
	v_fma_f64 v[91:92], v[38:39], s[4:5], v[117:118]
	v_add_f64 v[40:41], v[40:41], v[83:84]
	v_add_f64 v[32:33], v[103:104], v[32:33]
	v_fma_f64 v[95:96], v[38:39], s[22:23], v[61:62]
	v_fma_f64 v[61:62], v[38:39], s[20:21], v[61:62]
	v_add_f64 v[34:35], v[81:82], v[34:35]
	v_add_f64 v[20:21], v[26:27], v[20:21]
	v_fma_f64 v[24:25], v[38:39], s[8:9], v[111:112]
	v_fma_f64 v[87:88], v[38:39], s[30:31], v[115:116]
	;; [unrolled: 1-line block ×3, first 2 shown]
	v_add_f64 v[52:53], v[101:102], v[52:53]
	v_add_f64 v[48:49], v[89:90], v[48:49]
	;; [unrolled: 1-line block ×3, first 2 shown]
	v_fma_f64 v[79:80], v[38:39], s[14:15], v[113:114]
	v_add_f64 v[30:31], v[30:31], v[75:76]
	v_add_f64 v[18:19], v[22:23], v[18:19]
	v_mul_f64 v[22:23], v[59:60], s[18:19]
	v_fma_f64 v[26:27], v[38:39], s[24:25], v[109:110]
	v_add_f64 v[0:1], v[42:43], v[0:1]
	v_fma_f64 v[38:39], v[36:37], s[30:31], v[119:120]
	v_fma_f64 v[59:60], v[36:37], s[4:5], v[121:122]
	;; [unrolled: 1-line block ×3, first 2 shown]
	v_add_f64 v[44:45], v[63:64], v[44:45]
	v_add_f64 v[50:51], v[107:108], v[50:51]
	;; [unrolled: 1-line block ×3, first 2 shown]
	v_fma_f64 v[77:78], v[36:37], s[14:15], v[125:126]
	v_fma_f64 v[83:84], v[36:37], s[22:23], v[127:128]
	v_add_f64 v[40:41], v[85:86], v[40:41]
	v_add_f64 v[32:33], v[91:92], v[32:33]
	;; [unrolled: 1-line block ×4, first 2 shown]
	v_fma_f64 v[81:82], v[36:37], s[6:7], v[125:126]
	v_add_f64 v[24:25], v[24:25], v[52:53]
	v_add_f64 v[48:49], v[87:88], v[48:49]
	;; [unrolled: 1-line block ×3, first 2 shown]
	v_fma_f64 v[61:62], v[36:37], s[20:21], v[127:128]
	v_fma_f64 v[75:76], v[36:37], s[0:1], v[121:122]
	v_add_f64 v[16:17], v[18:19], v[16:17]
	v_fma_f64 v[18:19], v[36:37], s[16:17], v[22:23]
	v_fma_f64 v[22:23], v[36:37], s[8:9], v[22:23]
	v_add_f64 v[30:31], v[79:80], v[30:31]
	;; [unrolled: 3-line block ×3, first 2 shown]
	v_add_f64 v[26:27], v[38:39], v[44:45]
	v_add_f64 v[38:39], v[59:60], v[50:51]
	;; [unrolled: 1-line block ×12, first 2 shown]
	v_mul_u32_u24_e32 v16, 26, v69
	v_add_f64 v[0:1], v[36:37], v[0:1]
	v_or_b32_e32 v16, v16, v74
	v_lshl_add_u32 v16, v16, 3, 0
	ds_write2_b64 v16, v[38:39], v[28:29] offset0:4 offset1:6
	ds_write2_b64 v16, v[40:41], v[32:33] offset0:8 offset1:10
	;; [unrolled: 1-line block ×5, first 2 shown]
	ds_write2_b64 v16, v[14:15], v[26:27] offset1:2
	ds_write_b64 v16, v[0:1] offset:192
.LBB0_27:
	s_or_b32 exec_lo, exec_lo, s33
	v_and_b32_e32 v0, 0xff, v73
	v_mov_b32_e32 v1, 6
	s_waitcnt lgkmcnt(0)
	s_barrier
	buffer_gl0_inv
	v_mul_lo_u16 v0, 0x4f, v0
	s_mov_b32 s14, 0x37e14327
	s_mov_b32 s22, 0xe976ee23
	;; [unrolled: 1-line block ×4, first 2 shown]
	v_lshrrev_b16 v69, 11, v0
	s_mov_b32 s23, 0x3fe11646
	s_mov_b32 s0, 0x429ad128
	;; [unrolled: 1-line block ×4, first 2 shown]
	v_mul_lo_u16 v0, v69, 26
	s_mov_b32 s16, 0xaaaaaaaa
	s_mov_b32 s24, 0xb247c609
	s_mov_b32 s17, 0xbff2aaaa
	s_mov_b32 s4, 0x5476071b
	v_sub_nc_u16 v74, v73, v0
	s_mov_b32 s25, 0xbfd5d0dc
	s_mov_b32 s5, 0x3fe77f67
	;; [unrolled: 1-line block ×4, first 2 shown]
	v_mul_u32_u24_sdwa v0, v74, v1 dst_sel:DWORD dst_unused:UNUSED_PAD src0_sel:BYTE_0 src1_sel:DWORD
	s_mov_b32 s8, s4
	s_mov_b32 s18, s24
	;; [unrolled: 1-line block ×4, first 2 shown]
	v_lshlrev_b32_e32 v0, 4, v0
	s_clause 0x5
	global_load_dwordx4 v[14:17], v0, s[12:13] offset:384
	global_load_dwordx4 v[18:21], v0, s[12:13] offset:400
	;; [unrolled: 1-line block ×6, first 2 shown]
	ds_read2_b64 v[38:41], v70 offset1:182
	ds_read2_b64 v[42:45], v71 offset0:44 offset1:226
	ds_read_b64 v[0:1], v70 offset:8736
	ds_read2_b64 v[48:51], v72 offset0:24 offset1:206
	s_waitcnt vmcnt(0) lgkmcnt(0)
	s_barrier
	buffer_gl0_inv
	v_mul_f64 v[52:53], v[40:41], v[16:17]
	v_mul_f64 v[59:60], v[42:43], v[20:21]
	;; [unrolled: 1-line block ×12, first 2 shown]
	v_fma_f64 v[4:5], v[4:5], v[14:15], v[52:53]
	v_fma_f64 v[10:11], v[10:11], v[18:19], v[59:60]
	;; [unrolled: 1-line block ×4, first 2 shown]
	v_fma_f64 v[14:15], v[40:41], v[14:15], -v[16:17]
	v_fma_f64 v[16:17], v[42:43], v[18:19], -v[20:21]
	v_fma_f64 v[12:13], v[12:13], v[30:31], v[65:66]
	v_fma_f64 v[0:1], v[0:1], v[22:23], -v[24:25]
	v_fma_f64 v[18:19], v[50:51], v[26:27], -v[28:29]
	;; [unrolled: 1-line block ×3, first 2 shown]
	v_fma_f64 v[6:7], v[6:7], v[34:35], v[67:68]
	v_fma_f64 v[22:23], v[48:49], v[34:35], -v[36:37]
	v_add_f64 v[24:25], v[4:5], v[46:47]
	v_add_f64 v[26:27], v[10:11], v[8:9]
	v_add_f64 v[8:9], v[10:11], -v[8:9]
	v_add_f64 v[4:5], v[4:5], -v[46:47]
	v_add_f64 v[28:29], v[14:15], v[0:1]
	v_add_f64 v[30:31], v[16:17], v[18:19]
	v_add_f64 v[16:17], v[16:17], -v[18:19]
	v_add_f64 v[18:19], v[12:13], v[6:7]
	v_add_f64 v[32:33], v[22:23], -v[20:21]
	v_add_f64 v[0:1], v[14:15], -v[0:1]
	v_add_f64 v[20:21], v[20:21], v[22:23]
	v_add_f64 v[6:7], v[6:7], -v[12:13]
	v_add_f64 v[14:15], v[26:27], v[24:25]
	;; [unrolled: 2-line block ×3, first 2 shown]
	v_add_f64 v[12:13], v[24:25], -v[18:19]
	v_add_f64 v[22:23], v[32:33], -v[16:17]
	;; [unrolled: 1-line block ×5, first 2 shown]
	v_add_f64 v[16:17], v[32:33], v[16:17]
	v_add_f64 v[42:43], v[6:7], -v[8:9]
	v_add_f64 v[32:33], v[0:1], -v[32:33]
	;; [unrolled: 1-line block ×4, first 2 shown]
	v_add_f64 v[8:9], v[6:7], v[8:9]
	v_add_f64 v[6:7], v[4:5], -v[6:7]
	v_add_f64 v[14:15], v[18:19], v[14:15]
	v_add_f64 v[18:19], v[18:19], -v[26:27]
	v_add_f64 v[10:11], v[20:21], v[10:11]
	v_mul_f64 v[12:13], v[12:13], s[14:15]
	v_mul_f64 v[20:21], v[22:23], s[22:23]
	;; [unrolled: 1-line block ×5, first 2 shown]
	v_add_f64 v[0:1], v[16:17], v[0:1]
	v_mul_f64 v[16:17], v[42:43], s[22:23]
	v_mul_f64 v[42:43], v[44:45], s[0:1]
	v_add_f64 v[4:5], v[8:9], v[4:5]
	v_add_f64 v[2:3], v[2:3], v[14:15]
	v_mul_f64 v[26:27], v[18:19], s[6:7]
	v_add_f64 v[38:39], v[38:39], v[10:11]
	v_fma_f64 v[18:19], v[18:19], s[6:7], v[12:13]
	v_fma_f64 v[46:47], v[32:33], s[24:25], v[20:21]
	v_fma_f64 v[20:21], v[34:35], s[0:1], -v[20:21]
	v_fma_f64 v[22:23], v[32:33], s[18:19], -v[22:23]
	;; [unrolled: 1-line block ×3, first 2 shown]
	v_fma_f64 v[8:9], v[40:41], s[6:7], v[30:31]
	v_mov_b32_e32 v34, 0x5b0
	v_fma_f64 v[14:15], v[14:15], s[16:17], v[2:3]
	v_fma_f64 v[24:25], v[24:25], s[4:5], -v[26:27]
	v_fma_f64 v[26:27], v[28:29], s[4:5], -v[36:37]
	;; [unrolled: 1-line block ×3, first 2 shown]
	v_fma_f64 v[30:31], v[6:7], s[24:25], v[16:17]
	v_fma_f64 v[16:17], v[44:45], s[0:1], -v[16:17]
	v_fma_f64 v[6:7], v[6:7], s[18:19], -v[42:43]
	v_fma_f64 v[10:11], v[10:11], s[16:17], v[38:39]
	v_fma_f64 v[32:33], v[0:1], s[20:21], v[46:47]
	;; [unrolled: 1-line block ×4, first 2 shown]
	v_add_f64 v[18:19], v[18:19], v[14:15]
	v_add_f64 v[12:13], v[12:13], v[14:15]
	;; [unrolled: 1-line block ×3, first 2 shown]
	v_fma_f64 v[22:23], v[4:5], s[20:21], v[30:31]
	v_fma_f64 v[16:17], v[4:5], s[20:21], v[16:17]
	;; [unrolled: 1-line block ×3, first 2 shown]
	v_add_f64 v[6:7], v[8:9], v[10:11]
	v_add_f64 v[8:9], v[28:29], v[10:11]
	;; [unrolled: 1-line block ×3, first 2 shown]
	v_mov_b32_e32 v30, 3
	v_add_f64 v[24:25], v[32:33], v[18:19]
	v_add_f64 v[26:27], v[0:1], v[12:13]
	v_add_f64 v[28:29], v[14:15], -v[20:21]
	v_add_f64 v[14:15], v[20:21], v[14:15]
	v_add_f64 v[0:1], v[12:13], -v[0:1]
	v_add_f64 v[12:13], v[18:19], -v[32:33]
	v_mul_u32_u24_sdwa v18, v69, v34 dst_sel:DWORD dst_unused:UNUSED_PAD src0_sel:WORD_0 src1_sel:DWORD
	v_lshlrev_b32_sdwa v19, v30, v74 dst_sel:DWORD dst_unused:UNUSED_PAD src0_sel:DWORD src1_sel:BYTE_0
	v_add_f64 v[20:21], v[8:9], -v[4:5]
	v_add_f64 v[30:31], v[16:17], v[10:11]
	v_add_f64 v[16:17], v[10:11], -v[16:17]
	v_add_f64 v[32:33], v[4:5], v[8:9]
	v_add3_u32 v34, 0, v18, v19
	v_add_f64 v[18:19], v[6:7], -v[22:23]
	v_add_f64 v[22:23], v[22:23], v[6:7]
	ds_write2_b64 v34, v[2:3], v[24:25] offset1:26
	ds_write2_b64 v34, v[26:27], v[28:29] offset0:52 offset1:78
	ds_write2_b64 v34, v[14:15], v[0:1] offset0:104 offset1:130
	ds_write_b64 v34, v[12:13] offset:1248
	s_waitcnt lgkmcnt(0)
	s_barrier
	buffer_gl0_inv
	ds_read2_b64 v[0:3], v70 offset1:182
	ds_read2_b64 v[4:7], v71 offset0:44 offset1:226
	ds_read2_b64 v[8:11], v72 offset0:24 offset1:206
	ds_read_b64 v[12:13], v70 offset:8736
	s_waitcnt lgkmcnt(0)
	s_barrier
	buffer_gl0_inv
	ds_write2_b64 v34, v[38:39], v[18:19] offset1:26
	ds_write2_b64 v34, v[20:21], v[30:31] offset0:52 offset1:78
	ds_write2_b64 v34, v[16:17], v[32:33] offset0:104 offset1:130
	ds_write_b64 v34, v[22:23] offset:1248
	s_waitcnt lgkmcnt(0)
	s_barrier
	buffer_gl0_inv
	s_and_saveexec_b32 s26, vcc_lo
	s_cbranch_execz .LBB0_29
; %bb.28:
	v_mul_u32_u24_e32 v14, 6, v73
	v_add_nc_u32_e32 v42, 0x1600, v70
	v_add_nc_u32_e32 v46, 0xa00, v70
	v_lshlrev_b32_e32 v14, 4, v14
	v_add_co_u32 v14, s12, s12, v14
	v_add_co_ci_u32_e64 v15, null, s13, 0, s12
	v_add_co_u32 v34, vcc_lo, 0xb40, v14
	v_add_co_ci_u32_e32 v35, vcc_lo, 0, v15, vcc_lo
	v_add_co_u32 v22, vcc_lo, 0x800, v14
	v_add_co_ci_u32_e32 v23, vcc_lo, 0, v15, vcc_lo
	;; [unrolled: 2-line block ×3, first 2 shown]
	s_clause 0x5
	global_load_dwordx4 v[14:17], v[34:35], off offset:16
	global_load_dwordx4 v[18:21], v[22:23], off offset:896
	;; [unrolled: 1-line block ×6, first 2 shown]
	ds_read2_b64 v[38:41], v70 offset1:182
	ds_read_b64 v[50:51], v70 offset:8736
	ds_read2_b64 v[42:45], v42 offset0:24 offset1:206
	ds_read2_b64 v[46:49], v46 offset0:44 offset1:226
	s_waitcnt vmcnt(5)
	v_mul_f64 v[52:53], v[4:5], v[14:15]
	s_waitcnt vmcnt(4)
	v_mul_f64 v[59:60], v[10:11], v[18:19]
	v_mul_f64 v[4:5], v[4:5], v[16:17]
	v_mul_f64 v[10:11], v[10:11], v[20:21]
	s_waitcnt vmcnt(3)
	v_mul_f64 v[61:62], v[2:3], v[24:25]
	s_waitcnt vmcnt(2)
	v_mul_f64 v[63:64], v[12:13], v[28:29]
	v_mul_f64 v[2:3], v[2:3], v[22:23]
	v_mul_f64 v[12:13], v[12:13], v[26:27]
	;; [unrolled: 6-line block ×3, first 2 shown]
	s_waitcnt lgkmcnt(0)
	v_fma_f64 v[16:17], v[46:47], v[16:17], v[52:53]
	v_fma_f64 v[20:21], v[44:45], v[20:21], v[59:60]
	v_fma_f64 v[4:5], v[46:47], v[14:15], -v[4:5]
	v_fma_f64 v[10:11], v[44:45], v[18:19], -v[10:11]
	;; [unrolled: 1-line block ×4, first 2 shown]
	v_fma_f64 v[2:3], v[40:41], v[24:25], v[2:3]
	v_fma_f64 v[12:13], v[50:51], v[28:29], v[12:13]
	v_fma_f64 v[22:23], v[42:43], v[32:33], v[65:66]
	v_fma_f64 v[24:25], v[48:49], v[36:37], v[67:68]
	v_fma_f64 v[6:7], v[48:49], v[34:35], -v[6:7]
	v_fma_f64 v[8:9], v[42:43], v[30:31], -v[8:9]
	v_mul_lo_u32 v50, s3, v56
	v_mul_lo_u32 v51, s2, v57
	v_mov_b32_e32 v59, 0
	v_add_f64 v[30:31], v[16:17], v[20:21]
	v_add_f64 v[16:17], v[16:17], -v[20:21]
	v_add_f64 v[26:27], v[4:5], v[10:11]
	v_add_f64 v[4:5], v[4:5], -v[10:11]
	v_add_f64 v[28:29], v[14:15], v[18:19]
	v_add_f64 v[32:33], v[2:3], v[12:13]
	v_add_f64 v[34:35], v[22:23], -v[24:25]
	v_add_f64 v[22:23], v[22:23], v[24:25]
	v_add_f64 v[20:21], v[8:9], v[6:7]
	v_add_f64 v[6:7], v[8:9], -v[6:7]
	v_add_f64 v[8:9], v[2:3], -v[12:13]
	;; [unrolled: 1-line block ×3, first 2 shown]
	v_add_f64 v[2:3], v[26:27], v[28:29]
	v_add_f64 v[10:11], v[30:31], v[32:33]
	v_add_f64 v[14:15], v[34:35], -v[16:17]
	v_add_f64 v[24:25], v[32:33], -v[22:23]
	;; [unrolled: 1-line block ×6, first 2 shown]
	v_add_f64 v[16:17], v[34:35], v[16:17]
	v_add_f64 v[34:35], v[8:9], -v[34:35]
	v_add_f64 v[4:5], v[6:7], v[4:5]
	v_add_f64 v[6:7], v[12:13], -v[6:7]
	;; [unrolled: 2-line block ×4, first 2 shown]
	v_mul_f64 v[14:15], v[14:15], s[22:23]
	v_mul_f64 v[24:25], v[24:25], s[14:15]
	;; [unrolled: 1-line block ×5, first 2 shown]
	v_add_f64 v[26:27], v[26:27], -v[28:29]
	v_mul_f64 v[48:49], v[44:45], s[0:1]
	v_add_f64 v[30:31], v[30:31], -v[32:33]
	v_add_f64 v[8:9], v[16:17], v[8:9]
	v_add_f64 v[4:5], v[4:5], v[12:13]
	;; [unrolled: 1-line block ×3, first 2 shown]
	v_mul_f64 v[28:29], v[20:21], s[6:7]
	v_add_f64 v[0:1], v[0:1], v[10:11]
	v_mul_f64 v[32:33], v[22:23], s[6:7]
	v_mad_u64_u32 v[38:39], null, s2, v56, 0
	v_fma_f64 v[12:13], v[34:35], s[24:25], v[14:15]
	v_fma_f64 v[16:17], v[20:21], s[6:7], v[18:19]
	;; [unrolled: 1-line block ×4, first 2 shown]
	v_fma_f64 v[34:35], v[34:35], s[18:19], -v[46:47]
	v_fma_f64 v[14:15], v[40:41], s[0:1], -v[14:15]
	;; [unrolled: 1-line block ×6, first 2 shown]
	v_add3_u32 v39, v39, v51, v50
	v_fma_f64 v[40:41], v[42:43], s[16:17], v[2:3]
	v_fma_f64 v[26:27], v[26:27], s[4:5], -v[28:29]
	v_fma_f64 v[10:11], v[10:11], s[16:17], v[0:1]
	v_fma_f64 v[30:31], v[30:31], s[4:5], -v[32:33]
	v_lshlrev_b64 v[28:29], 4, v[38:39]
	v_lshlrev_b64 v[32:33], 4, v[54:55]
	v_fma_f64 v[12:13], v[8:9], s[20:21], v[12:13]
	v_lshlrev_b64 v[38:39], 4, v[58:59]
	v_add_co_u32 v42, vcc_lo, s10, v28
	v_add_co_ci_u32_e32 v43, vcc_lo, s11, v29, vcc_lo
	v_fma_f64 v[28:29], v[4:5], s[20:21], v[22:23]
	v_fma_f64 v[22:23], v[8:9], s[20:21], v[34:35]
	v_fma_f64 v[8:9], v[8:9], s[20:21], v[14:15]
	v_add_co_u32 v14, vcc_lo, v42, v32
	v_add_co_ci_u32_e32 v15, vcc_lo, v43, v33, vcc_lo
	v_fma_f64 v[32:33], v[4:5], s[20:21], v[6:7]
	v_add_f64 v[16:17], v[16:17], v[40:41]
	v_add_f64 v[34:35], v[18:19], v[40:41]
	;; [unrolled: 1-line block ×5, first 2 shown]
	v_fma_f64 v[36:37], v[4:5], s[20:21], v[36:37]
	v_add_f64 v[30:31], v[30:31], v[10:11]
	v_add_co_u32 v38, vcc_lo, v14, v38
	v_add_co_ci_u32_e32 v39, vcc_lo, v15, v39, vcc_lo
	v_add_co_u32 v42, vcc_lo, 0x800, v38
	v_add_co_ci_u32_e32 v43, vcc_lo, 0, v39, vcc_lo
	v_add_co_u32 v44, vcc_lo, 0x1000, v38
	v_add_co_ci_u32_e32 v45, vcc_lo, 0, v39, vcc_lo
	v_add_f64 v[26:27], v[16:17], -v[12:13]
	v_add_f64 v[10:11], v[22:23], v[34:35]
	v_add_f64 v[24:25], v[28:29], v[20:21]
	v_add_f64 v[4:5], v[20:21], -v[28:29]
	v_add_f64 v[22:23], v[34:35], -v[22:23]
	v_add_f64 v[20:21], v[32:33], v[40:41]
	v_add_f64 v[6:7], v[12:13], v[16:17]
	v_add_f64 v[14:15], v[18:19], -v[8:9]
	v_add_f64 v[18:19], v[8:9], v[18:19]
	v_add_f64 v[16:17], v[30:31], -v[36:37]
	;; [unrolled: 2-line block ×3, first 2 shown]
	v_add_co_u32 v28, vcc_lo, 0x2000, v38
	v_add_co_ci_u32_e32 v29, vcc_lo, 0, v39, vcc_lo
	v_add_co_u32 v30, vcc_lo, 0x2800, v38
	v_add_co_ci_u32_e32 v31, vcc_lo, 0, v39, vcc_lo
	;; [unrolled: 2-line block ×4, first 2 shown]
	global_store_dwordx4 v[38:39], v[0:3], off
	global_store_dwordx4 v[42:43], v[24:27], off offset:864
	global_store_dwordx4 v[44:45], v[20:23], off offset:1728
	global_store_dwordx4 v[28:29], v[16:19], off offset:544
	global_store_dwordx4 v[30:31], v[12:15], off offset:1408
	global_store_dwordx4 v[32:33], v[8:11], off offset:224
	global_store_dwordx4 v[34:35], v[4:7], off offset:1088
.LBB0_29:
	s_endpgm
	.section	.rodata,"a",@progbits
	.p2align	6, 0x0
	.amdhsa_kernel fft_rtc_back_len1274_factors_2_13_7_7_wgs_182_tpt_182_halfLds_dp_op_CI_CI_unitstride_sbrr_dirReg
		.amdhsa_group_segment_fixed_size 0
		.amdhsa_private_segment_fixed_size 0
		.amdhsa_kernarg_size 104
		.amdhsa_user_sgpr_count 6
		.amdhsa_user_sgpr_private_segment_buffer 1
		.amdhsa_user_sgpr_dispatch_ptr 0
		.amdhsa_user_sgpr_queue_ptr 0
		.amdhsa_user_sgpr_kernarg_segment_ptr 1
		.amdhsa_user_sgpr_dispatch_id 0
		.amdhsa_user_sgpr_flat_scratch_init 0
		.amdhsa_user_sgpr_private_segment_size 0
		.amdhsa_wavefront_size32 1
		.amdhsa_uses_dynamic_stack 0
		.amdhsa_system_sgpr_private_segment_wavefront_offset 0
		.amdhsa_system_sgpr_workgroup_id_x 1
		.amdhsa_system_sgpr_workgroup_id_y 0
		.amdhsa_system_sgpr_workgroup_id_z 0
		.amdhsa_system_sgpr_workgroup_info 0
		.amdhsa_system_vgpr_workitem_id 0
		.amdhsa_next_free_vgpr 157
		.amdhsa_next_free_sgpr 44
		.amdhsa_reserve_vcc 1
		.amdhsa_reserve_flat_scratch 0
		.amdhsa_float_round_mode_32 0
		.amdhsa_float_round_mode_16_64 0
		.amdhsa_float_denorm_mode_32 3
		.amdhsa_float_denorm_mode_16_64 3
		.amdhsa_dx10_clamp 1
		.amdhsa_ieee_mode 1
		.amdhsa_fp16_overflow 0
		.amdhsa_workgroup_processor_mode 1
		.amdhsa_memory_ordered 1
		.amdhsa_forward_progress 0
		.amdhsa_shared_vgpr_count 0
		.amdhsa_exception_fp_ieee_invalid_op 0
		.amdhsa_exception_fp_denorm_src 0
		.amdhsa_exception_fp_ieee_div_zero 0
		.amdhsa_exception_fp_ieee_overflow 0
		.amdhsa_exception_fp_ieee_underflow 0
		.amdhsa_exception_fp_ieee_inexact 0
		.amdhsa_exception_int_div_zero 0
	.end_amdhsa_kernel
	.text
.Lfunc_end0:
	.size	fft_rtc_back_len1274_factors_2_13_7_7_wgs_182_tpt_182_halfLds_dp_op_CI_CI_unitstride_sbrr_dirReg, .Lfunc_end0-fft_rtc_back_len1274_factors_2_13_7_7_wgs_182_tpt_182_halfLds_dp_op_CI_CI_unitstride_sbrr_dirReg
                                        ; -- End function
	.section	.AMDGPU.csdata,"",@progbits
; Kernel info:
; codeLenInByte = 9316
; NumSgprs: 46
; NumVgprs: 157
; ScratchSize: 0
; MemoryBound: 1
; FloatMode: 240
; IeeeMode: 1
; LDSByteSize: 0 bytes/workgroup (compile time only)
; SGPRBlocks: 5
; VGPRBlocks: 19
; NumSGPRsForWavesPerEU: 46
; NumVGPRsForWavesPerEU: 157
; Occupancy: 6
; WaveLimiterHint : 1
; COMPUTE_PGM_RSRC2:SCRATCH_EN: 0
; COMPUTE_PGM_RSRC2:USER_SGPR: 6
; COMPUTE_PGM_RSRC2:TRAP_HANDLER: 0
; COMPUTE_PGM_RSRC2:TGID_X_EN: 1
; COMPUTE_PGM_RSRC2:TGID_Y_EN: 0
; COMPUTE_PGM_RSRC2:TGID_Z_EN: 0
; COMPUTE_PGM_RSRC2:TIDIG_COMP_CNT: 0
	.text
	.p2alignl 6, 3214868480
	.fill 48, 4, 3214868480
	.type	__hip_cuid_9b9cca20a1a91ee8,@object ; @__hip_cuid_9b9cca20a1a91ee8
	.section	.bss,"aw",@nobits
	.globl	__hip_cuid_9b9cca20a1a91ee8
__hip_cuid_9b9cca20a1a91ee8:
	.byte	0                               ; 0x0
	.size	__hip_cuid_9b9cca20a1a91ee8, 1

	.ident	"AMD clang version 19.0.0git (https://github.com/RadeonOpenCompute/llvm-project roc-6.4.0 25133 c7fe45cf4b819c5991fe208aaa96edf142730f1d)"
	.section	".note.GNU-stack","",@progbits
	.addrsig
	.addrsig_sym __hip_cuid_9b9cca20a1a91ee8
	.amdgpu_metadata
---
amdhsa.kernels:
  - .args:
      - .actual_access:  read_only
        .address_space:  global
        .offset:         0
        .size:           8
        .value_kind:     global_buffer
      - .offset:         8
        .size:           8
        .value_kind:     by_value
      - .actual_access:  read_only
        .address_space:  global
        .offset:         16
        .size:           8
        .value_kind:     global_buffer
      - .actual_access:  read_only
        .address_space:  global
        .offset:         24
        .size:           8
        .value_kind:     global_buffer
      - .actual_access:  read_only
        .address_space:  global
        .offset:         32
        .size:           8
        .value_kind:     global_buffer
      - .offset:         40
        .size:           8
        .value_kind:     by_value
      - .actual_access:  read_only
        .address_space:  global
        .offset:         48
        .size:           8
        .value_kind:     global_buffer
      - .actual_access:  read_only
        .address_space:  global
        .offset:         56
        .size:           8
        .value_kind:     global_buffer
      - .offset:         64
        .size:           4
        .value_kind:     by_value
      - .actual_access:  read_only
        .address_space:  global
        .offset:         72
        .size:           8
        .value_kind:     global_buffer
      - .actual_access:  read_only
        .address_space:  global
        .offset:         80
        .size:           8
        .value_kind:     global_buffer
      - .actual_access:  read_only
        .address_space:  global
        .offset:         88
        .size:           8
        .value_kind:     global_buffer
      - .actual_access:  write_only
        .address_space:  global
        .offset:         96
        .size:           8
        .value_kind:     global_buffer
    .group_segment_fixed_size: 0
    .kernarg_segment_align: 8
    .kernarg_segment_size: 104
    .language:       OpenCL C
    .language_version:
      - 2
      - 0
    .max_flat_workgroup_size: 182
    .name:           fft_rtc_back_len1274_factors_2_13_7_7_wgs_182_tpt_182_halfLds_dp_op_CI_CI_unitstride_sbrr_dirReg
    .private_segment_fixed_size: 0
    .sgpr_count:     46
    .sgpr_spill_count: 0
    .symbol:         fft_rtc_back_len1274_factors_2_13_7_7_wgs_182_tpt_182_halfLds_dp_op_CI_CI_unitstride_sbrr_dirReg.kd
    .uniform_work_group_size: 1
    .uses_dynamic_stack: false
    .vgpr_count:     157
    .vgpr_spill_count: 0
    .wavefront_size: 32
    .workgroup_processor_mode: 1
amdhsa.target:   amdgcn-amd-amdhsa--gfx1030
amdhsa.version:
  - 1
  - 2
...

	.end_amdgpu_metadata
